;; amdgpu-corpus repo=ROCm/rocFFT kind=compiled arch=gfx906 opt=O3
	.text
	.amdgcn_target "amdgcn-amd-amdhsa--gfx906"
	.amdhsa_code_object_version 6
	.protected	fft_rtc_fwd_len224_factors_8_7_4_wgs_504_tpt_56_half_ip_CI_sbcc_twdbase5_3step ; -- Begin function fft_rtc_fwd_len224_factors_8_7_4_wgs_504_tpt_56_half_ip_CI_sbcc_twdbase5_3step
	.globl	fft_rtc_fwd_len224_factors_8_7_4_wgs_504_tpt_56_half_ip_CI_sbcc_twdbase5_3step
	.p2align	8
	.type	fft_rtc_fwd_len224_factors_8_7_4_wgs_504_tpt_56_half_ip_CI_sbcc_twdbase5_3step,@function
fft_rtc_fwd_len224_factors_8_7_4_wgs_504_tpt_56_half_ip_CI_sbcc_twdbase5_3step: ; @fft_rtc_fwd_len224_factors_8_7_4_wgs_504_tpt_56_half_ip_CI_sbcc_twdbase5_3step
; %bb.0:
	s_load_dwordx8 s[8:15], s[4:5], 0x8
	s_movk_i32 s0, 0x60
	v_cmp_gt_u32_e32 vcc, s0, v0
	s_and_saveexec_b64 s[0:1], vcc
	s_cbranch_execz .LBB0_2
; %bb.1:
	v_lshlrev_b32_e32 v1, 2, v0
	s_waitcnt lgkmcnt(0)
	global_load_dword v2, v1, s[8:9]
	v_add_u32_e32 v1, 0, v1
	s_waitcnt vmcnt(0)
	ds_write_b32 v1, v2 offset:8064
.LBB0_2:
	s_or_b64 exec, exec, s[0:1]
	s_waitcnt lgkmcnt(0)
	s_load_dwordx2 s[20:21], s[12:13], 0x8
	s_mov_b32 s7, 0
	s_mov_b64 s[24:25], 0
	s_waitcnt lgkmcnt(0)
	s_add_u32 s0, s20, -1
	s_addc_u32 s1, s21, -1
	s_add_u32 s2, 0, 0x71c4fc00
	s_addc_u32 s3, 0, 0x7c
	s_mul_hi_u32 s9, s2, -9
	s_add_i32 s3, s3, 0x1c71c6a0
	s_sub_i32 s9, s9, s2
	s_mul_i32 s18, s3, -9
	s_mul_i32 s8, s2, -9
	s_add_i32 s9, s9, s18
	s_mul_hi_u32 s16, s3, s8
	s_mul_i32 s17, s3, s8
	s_mul_i32 s19, s2, s9
	s_mul_hi_u32 s8, s2, s8
	s_mul_hi_u32 s18, s2, s9
	s_add_u32 s8, s8, s19
	s_addc_u32 s18, 0, s18
	s_add_u32 s8, s8, s17
	s_mul_hi_u32 s19, s3, s9
	s_addc_u32 s8, s18, s16
	s_addc_u32 s16, s19, 0
	s_mul_i32 s9, s3, s9
	s_add_u32 s8, s8, s9
	v_mov_b32_e32 v1, s8
	s_addc_u32 s9, 0, s16
	v_add_co_u32_e32 v1, vcc, s2, v1
	s_cmp_lg_u64 vcc, 0
	s_addc_u32 s2, s3, s9
	v_readfirstlane_b32 s9, v1
	s_mul_i32 s8, s0, s2
	s_mul_hi_u32 s16, s0, s9
	s_mul_hi_u32 s3, s0, s2
	s_add_u32 s8, s16, s8
	s_addc_u32 s3, 0, s3
	s_mul_hi_u32 s17, s1, s9
	s_mul_i32 s9, s1, s9
	s_add_u32 s8, s8, s9
	s_mul_hi_u32 s16, s1, s2
	s_addc_u32 s3, s3, s17
	s_addc_u32 s8, s16, 0
	s_mul_i32 s2, s1, s2
	s_add_u32 s2, s3, s2
	s_addc_u32 s3, 0, s8
	s_add_u32 s8, s2, 1
	s_addc_u32 s9, s3, 0
	s_add_u32 s16, s2, 2
	s_mul_i32 s18, s3, 9
	s_mul_hi_u32 s19, s2, 9
	s_addc_u32 s17, s3, 0
	s_add_i32 s19, s19, s18
	s_mul_i32 s18, s2, 9
	v_mov_b32_e32 v1, s18
	v_sub_co_u32_e32 v1, vcc, s0, v1
	s_cmp_lg_u64 vcc, 0
	s_subb_u32 s0, s1, s19
	v_subrev_co_u32_e32 v2, vcc, 9, v1
	s_cmp_lg_u64 vcc, 0
	s_subb_u32 s1, s0, 0
	v_readfirstlane_b32 s18, v2
	s_cmp_gt_u32 s18, 8
	s_cselect_b32 s18, -1, 0
	s_cmp_eq_u32 s1, 0
	s_cselect_b32 s1, s18, -1
	s_cmp_lg_u32 s1, 0
	s_cselect_b32 s1, s16, s8
	s_cselect_b32 s8, s17, s9
	v_readfirstlane_b32 s9, v1
	s_cmp_gt_u32 s9, 8
	s_cselect_b32 s9, -1, 0
	s_cmp_eq_u32 s0, 0
	s_cselect_b32 s0, s9, -1
	s_cmp_lg_u32 s0, 0
	s_cselect_b32 s1, s1, s2
	s_cselect_b32 s0, s8, s3
	s_add_u32 s22, s1, 1
	s_addc_u32 s23, s0, 0
	v_mov_b32_e32 v1, s22
	v_mov_b32_e32 v2, s23
	v_cmp_lt_u64_e32 vcc, s[6:7], v[1:2]
	s_cbranch_vccnz .LBB0_4
; %bb.3:
	v_cvt_f32_u32_e32 v1, s22
	s_sub_i32 s0, 0, s22
	s_mov_b32 s25, s7
	v_rcp_iflag_f32_e32 v1, v1
	v_mul_f32_e32 v1, 0x4f7ffffe, v1
	v_cvt_u32_f32_e32 v1, v1
	v_readfirstlane_b32 s1, v1
	s_mul_i32 s0, s0, s1
	s_mul_hi_u32 s0, s1, s0
	s_add_i32 s1, s1, s0
	s_mul_hi_u32 s0, s6, s1
	s_mul_i32 s2, s0, s22
	s_sub_i32 s2, s6, s2
	s_add_i32 s1, s0, 1
	s_sub_i32 s3, s2, s22
	s_cmp_ge_u32 s2, s22
	s_cselect_b32 s0, s1, s0
	s_cselect_b32 s2, s3, s2
	s_add_i32 s1, s0, 1
	s_cmp_ge_u32 s2, s22
	s_cselect_b32 s24, s1, s0
.LBB0_4:
	s_mul_i32 s0, s24, s23
	s_mul_hi_u32 s1, s24, s22
	s_load_dwordx2 s[2:3], s[4:5], 0x58
	s_load_dwordx2 s[8:9], s[4:5], 0x0
	s_load_dwordx4 s[16:19], s[14:15], 0x0
	s_add_i32 s1, s1, s0
	s_mul_i32 s0, s24, s22
	s_sub_u32 s36, s6, s0
	s_subb_u32 s0, 0, s1
	s_mul_i32 s0, s0, 9
	s_mul_hi_u32 s33, s36, 9
	s_add_i32 s33, s33, s0
	s_mul_i32 s36, s36, 9
	s_waitcnt lgkmcnt(0)
	s_mul_i32 s0, s18, s33
	s_mul_hi_u32 s1, s18, s36
	s_add_i32 s0, s1, s0
	s_mul_i32 s1, s19, s36
	s_add_i32 s37, s0, s1
	v_cmp_lt_u64_e64 s[0:1], s[10:11], 3
	s_mul_i32 s38, s18, s36
	s_and_b64 vcc, exec, s[0:1]
	s_cbranch_vccnz .LBB0_14
; %bb.5:
	s_add_u32 s4, s14, 16
	s_addc_u32 s5, s15, 0
	s_add_u32 s12, s12, 16
	v_mov_b32_e32 v1, s10
	s_addc_u32 s13, s13, 0
	s_mov_b64 s[26:27], 2
	s_mov_b32 s28, 0
	v_mov_b32_e32 v2, s11
.LBB0_6:                                ; =>This Inner Loop Header: Depth=1
	s_load_dwordx2 s[30:31], s[12:13], 0x0
	s_waitcnt lgkmcnt(0)
	s_or_b64 s[0:1], s[24:25], s[30:31]
	s_mov_b32 s29, s1
	s_cmp_lg_u64 s[28:29], 0
	s_cbranch_scc0 .LBB0_11
; %bb.7:                                ;   in Loop: Header=BB0_6 Depth=1
	v_cvt_f32_u32_e32 v3, s30
	v_cvt_f32_u32_e32 v4, s31
	s_sub_u32 s0, 0, s30
	s_subb_u32 s1, 0, s31
	v_mac_f32_e32 v3, 0x4f800000, v4
	v_rcp_f32_e32 v3, v3
	v_mul_f32_e32 v3, 0x5f7ffffc, v3
	v_mul_f32_e32 v4, 0x2f800000, v3
	v_trunc_f32_e32 v4, v4
	v_mac_f32_e32 v3, 0xcf800000, v4
	v_cvt_u32_f32_e32 v4, v4
	v_cvt_u32_f32_e32 v3, v3
	v_readfirstlane_b32 s29, v4
	v_readfirstlane_b32 s34, v3
	s_mul_i32 s35, s0, s29
	s_mul_hi_u32 s40, s0, s34
	s_mul_i32 s39, s1, s34
	s_add_i32 s35, s40, s35
	s_mul_i32 s41, s0, s34
	s_add_i32 s35, s35, s39
	s_mul_hi_u32 s39, s34, s35
	s_mul_i32 s40, s34, s35
	s_mul_hi_u32 s34, s34, s41
	s_add_u32 s34, s34, s40
	s_addc_u32 s39, 0, s39
	s_mul_hi_u32 s42, s29, s41
	s_mul_i32 s41, s29, s41
	s_add_u32 s34, s34, s41
	s_mul_hi_u32 s40, s29, s35
	s_addc_u32 s34, s39, s42
	s_addc_u32 s39, s40, 0
	s_mul_i32 s35, s29, s35
	s_add_u32 s34, s34, s35
	s_addc_u32 s35, 0, s39
	v_add_co_u32_e32 v3, vcc, s34, v3
	s_cmp_lg_u64 vcc, 0
	s_addc_u32 s29, s29, s35
	v_readfirstlane_b32 s35, v3
	s_mul_i32 s34, s0, s29
	s_mul_hi_u32 s39, s0, s35
	s_add_i32 s34, s39, s34
	s_mul_i32 s1, s1, s35
	s_add_i32 s34, s34, s1
	s_mul_i32 s0, s0, s35
	s_mul_hi_u32 s39, s29, s0
	s_mul_i32 s40, s29, s0
	s_mul_i32 s42, s35, s34
	s_mul_hi_u32 s0, s35, s0
	s_mul_hi_u32 s41, s35, s34
	s_add_u32 s0, s0, s42
	s_addc_u32 s35, 0, s41
	s_add_u32 s0, s0, s40
	s_mul_hi_u32 s1, s29, s34
	s_addc_u32 s0, s35, s39
	s_addc_u32 s1, s1, 0
	s_mul_i32 s34, s29, s34
	s_add_u32 s0, s0, s34
	s_addc_u32 s1, 0, s1
	v_add_co_u32_e32 v3, vcc, s0, v3
	s_cmp_lg_u64 vcc, 0
	s_addc_u32 s0, s29, s1
	v_readfirstlane_b32 s34, v3
	s_mul_i32 s29, s24, s0
	s_mul_hi_u32 s35, s24, s34
	s_mul_hi_u32 s1, s24, s0
	s_add_u32 s29, s35, s29
	s_addc_u32 s1, 0, s1
	s_mul_hi_u32 s39, s25, s34
	s_mul_i32 s34, s25, s34
	s_add_u32 s29, s29, s34
	s_mul_hi_u32 s35, s25, s0
	s_addc_u32 s1, s1, s39
	s_addc_u32 s29, s35, 0
	s_mul_i32 s0, s25, s0
	s_add_u32 s34, s1, s0
	s_addc_u32 s29, 0, s29
	s_mul_i32 s0, s30, s29
	s_mul_hi_u32 s1, s30, s34
	s_add_i32 s0, s1, s0
	s_mul_i32 s1, s31, s34
	s_add_i32 s35, s0, s1
	s_mul_i32 s1, s30, s34
	v_mov_b32_e32 v3, s1
	s_sub_i32 s0, s25, s35
	v_sub_co_u32_e32 v3, vcc, s24, v3
	s_cmp_lg_u64 vcc, 0
	s_subb_u32 s39, s0, s31
	v_subrev_co_u32_e64 v4, s[0:1], s30, v3
	s_cmp_lg_u64 s[0:1], 0
	s_subb_u32 s0, s39, 0
	s_cmp_ge_u32 s0, s31
	v_readfirstlane_b32 s39, v4
	s_cselect_b32 s1, -1, 0
	s_cmp_ge_u32 s39, s30
	s_cselect_b32 s39, -1, 0
	s_cmp_eq_u32 s0, s31
	s_cselect_b32 s0, s39, s1
	s_add_u32 s1, s34, 1
	s_addc_u32 s39, s29, 0
	s_add_u32 s40, s34, 2
	s_addc_u32 s41, s29, 0
	s_cmp_lg_u32 s0, 0
	s_cselect_b32 s0, s40, s1
	s_cselect_b32 s1, s41, s39
	s_cmp_lg_u64 vcc, 0
	s_subb_u32 s35, s25, s35
	s_cmp_ge_u32 s35, s31
	v_readfirstlane_b32 s40, v3
	s_cselect_b32 s39, -1, 0
	s_cmp_ge_u32 s40, s30
	s_cselect_b32 s40, -1, 0
	s_cmp_eq_u32 s35, s31
	s_cselect_b32 s35, s40, s39
	s_cmp_lg_u32 s35, 0
	s_cselect_b32 s1, s1, s29
	s_cselect_b32 s0, s0, s34
	s_cbranch_execnz .LBB0_9
.LBB0_8:                                ;   in Loop: Header=BB0_6 Depth=1
	v_cvt_f32_u32_e32 v3, s30
	s_sub_i32 s0, 0, s30
	v_rcp_iflag_f32_e32 v3, v3
	v_mul_f32_e32 v3, 0x4f7ffffe, v3
	v_cvt_u32_f32_e32 v3, v3
	v_readfirstlane_b32 s1, v3
	s_mul_i32 s0, s0, s1
	s_mul_hi_u32 s0, s1, s0
	s_add_i32 s1, s1, s0
	s_mul_hi_u32 s0, s24, s1
	s_mul_i32 s29, s0, s30
	s_sub_i32 s29, s24, s29
	s_add_i32 s1, s0, 1
	s_sub_i32 s34, s29, s30
	s_cmp_ge_u32 s29, s30
	s_cselect_b32 s0, s1, s0
	s_cselect_b32 s29, s34, s29
	s_add_i32 s1, s0, 1
	s_cmp_ge_u32 s29, s30
	s_cselect_b32 s0, s1, s0
	s_mov_b32 s1, s28
.LBB0_9:                                ;   in Loop: Header=BB0_6 Depth=1
	s_mul_i32 s23, s30, s23
	s_mul_hi_u32 s29, s30, s22
	s_add_i32 s23, s29, s23
	s_mul_i32 s29, s31, s22
	s_add_i32 s23, s23, s29
	s_mul_i32 s29, s0, s31
	s_mul_hi_u32 s31, s0, s30
	s_load_dwordx2 s[34:35], s[4:5], 0x0
	s_add_i32 s29, s31, s29
	s_mul_i32 s31, s1, s30
	s_mul_i32 s22, s30, s22
	s_add_i32 s29, s29, s31
	s_mul_i32 s30, s0, s30
	s_sub_u32 s24, s24, s30
	s_subb_u32 s25, s25, s29
	s_waitcnt lgkmcnt(0)
	s_mul_i32 s25, s34, s25
	s_mul_hi_u32 s29, s34, s24
	s_add_i32 s25, s29, s25
	s_mul_i32 s29, s35, s24
	s_add_i32 s25, s25, s29
	s_mul_i32 s24, s34, s24
	s_add_u32 s38, s24, s38
	s_addc_u32 s37, s25, s37
	s_add_u32 s26, s26, 1
	s_addc_u32 s27, s27, 0
	;; [unrolled: 2-line block ×3, first 2 shown]
	v_cmp_ge_u64_e32 vcc, s[26:27], v[1:2]
	s_add_u32 s12, s12, 8
	s_addc_u32 s13, s13, 0
	s_cbranch_vccnz .LBB0_12
; %bb.10:                               ;   in Loop: Header=BB0_6 Depth=1
	s_mov_b64 s[24:25], s[0:1]
	s_branch .LBB0_6
.LBB0_11:                               ;   in Loop: Header=BB0_6 Depth=1
                                        ; implicit-def: $sgpr0_sgpr1
	s_branch .LBB0_8
.LBB0_12:
	v_mov_b32_e32 v1, s22
	v_mov_b32_e32 v2, s23
	v_cmp_lt_u64_e32 vcc, s[6:7], v[1:2]
	s_mov_b64 s[24:25], 0
	s_cbranch_vccnz .LBB0_14
; %bb.13:
	v_cvt_f32_u32_e32 v1, s22
	s_sub_i32 s0, 0, s22
	v_rcp_iflag_f32_e32 v1, v1
	v_mul_f32_e32 v1, 0x4f7ffffe, v1
	v_cvt_u32_f32_e32 v1, v1
	v_readfirstlane_b32 s1, v1
	s_mul_i32 s0, s0, s1
	s_mul_hi_u32 s0, s1, s0
	s_add_i32 s1, s1, s0
	s_mul_hi_u32 s0, s6, s1
	s_mul_i32 s4, s0, s22
	s_sub_i32 s4, s6, s4
	s_add_i32 s1, s0, 1
	s_sub_i32 s5, s4, s22
	s_cmp_ge_u32 s4, s22
	s_cselect_b32 s0, s1, s0
	s_cselect_b32 s4, s5, s4
	s_add_i32 s1, s0, 1
	s_cmp_ge_u32 s4, s22
	s_cselect_b32 s24, s1, s0
.LBB0_14:
	s_lshl_b64 s[0:1], s[10:11], 3
	s_add_u32 s0, s14, s0
	s_addc_u32 s1, s15, s1
	s_load_dwordx2 s[0:1], s[0:1], 0x0
	s_mov_b32 s4, 0x1c71c71d
	v_mul_hi_u32 v6, v0, s4
	v_mov_b32_e32 v1, s20
	v_mov_b32_e32 v2, s21
	s_waitcnt lgkmcnt(0)
	s_mul_i32 s1, s1, s24
	s_mul_hi_u32 s4, s0, s24
	s_mul_i32 s0, s0, s24
	s_add_i32 s1, s4, s1
	s_add_u32 s4, s0, s38
	s_addc_u32 s5, s1, s37
	s_add_u32 s0, s36, 9
	s_addc_u32 s1, s33, 0
	v_cmp_le_u64_e32 vcc, s[0:1], v[1:2]
	v_mul_u32_u24_e32 v1, 9, v6
	v_sub_u32_e32 v8, v0, v1
	v_mov_b32_e32 v2, s33
	v_add_co_u32_e64 v1, s[0:1], s36, v8
	v_addc_co_u32_e64 v2, s[0:1], 0, v2, s[0:1]
	v_cmp_gt_u64_e64 s[0:1], s[20:21], v[1:2]
	v_lshlrev_b32_e32 v9, 2, v6
	s_or_b64 s[0:1], vcc, s[0:1]
	v_add_u32_e32 v7, 56, v6
	s_and_saveexec_b64 s[6:7], s[0:1]
	s_cbranch_execz .LBB0_16
; %bb.15:
	v_mad_u64_u32 v[1:2], s[10:11], s18, v8, 0
	v_mad_u64_u32 v[3:4], s[10:11], s16, v6, 0
	v_add_u32_e32 v12, 0x70, v6
	v_add_u32_e32 v15, 0xa8, v6
	v_mad_u64_u32 v[10:11], s[10:11], s19, v8, v[2:3]
	v_mov_b32_e32 v2, v4
	v_mad_u64_u32 v[4:5], s[10:11], s17, v6, v[2:3]
	s_lshl_b64 s[10:11], s[4:5], 2
	s_add_u32 s12, s2, s10
	s_addc_u32 s10, s3, s11
	v_mov_b32_e32 v2, v10
	v_mov_b32_e32 v5, s10
	v_mad_u64_u32 v[10:11], s[10:11], s16, v7, 0
	v_lshlrev_b64 v[1:2], 2, v[1:2]
	v_add_co_u32_e32 v16, vcc, s12, v1
	v_addc_co_u32_e32 v17, vcc, v5, v2, vcc
	v_lshlrev_b64 v[1:2], 2, v[3:4]
	v_mov_b32_e32 v3, v11
	v_mad_u64_u32 v[3:4], s[10:11], s17, v7, v[3:4]
	v_mad_u64_u32 v[4:5], s[10:11], s16, v12, 0
	v_mov_b32_e32 v11, v3
	v_add_co_u32_e32 v1, vcc, v16, v1
	v_mov_b32_e32 v3, v5
	v_mad_u64_u32 v[12:13], s[10:11], s17, v12, v[3:4]
	v_mad_u64_u32 v[13:14], s[10:11], s16, v15, 0
	v_mov_b32_e32 v5, v12
	v_lshlrev_b64 v[3:4], 2, v[4:5]
	v_mov_b32_e32 v5, v14
	v_lshlrev_b64 v[10:11], 2, v[10:11]
	v_mad_u64_u32 v[14:15], s[10:11], s17, v15, v[5:6]
	v_addc_co_u32_e32 v2, vcc, v17, v2, vcc
	v_add_co_u32_e32 v10, vcc, v16, v10
	v_addc_co_u32_e32 v11, vcc, v17, v11, vcc
	v_add_co_u32_e32 v3, vcc, v16, v3
	v_lshlrev_b64 v[12:13], 2, v[13:14]
	v_addc_co_u32_e32 v4, vcc, v17, v4, vcc
	v_add_co_u32_e32 v12, vcc, v16, v12
	v_addc_co_u32_e32 v13, vcc, v17, v13, vcc
	global_load_dword v5, v[1:2], off
	global_load_dword v14, v[10:11], off
	;; [unrolled: 1-line block ×4, first 2 shown]
	s_movk_i32 s10, 0x380
	v_mul_lo_u32 v1, v8, s10
	v_add3_u32 v1, 0, v1, v9
	s_waitcnt vmcnt(2)
	ds_write2_b32 v1, v5, v14 offset1:56
	s_waitcnt vmcnt(0)
	ds_write2_b32 v1, v15, v16 offset0:112 offset1:168
.LBB0_16:
	s_or_b64 exec, exec, s[6:7]
	s_mov_b32 s6, 0x4924925
	v_mul_hi_u32 v5, v0, s6
	s_add_u32 s6, 0, 0x71c4fc00
	s_addc_u32 s7, 0, 0x7c
	s_add_i32 s7, s7, 0x1c71c6a0
	s_mul_hi_u32 s13, s6, -9
	s_sub_i32 s13, s13, s6
	s_mul_i32 s14, s7, -9
	s_mul_i32 s10, s6, -9
	s_add_i32 s13, s13, s14
	s_mul_hi_u32 s11, s7, s10
	s_mul_i32 s12, s7, s10
	s_mul_i32 s15, s6, s13
	s_mul_hi_u32 s10, s6, s10
	s_mul_hi_u32 s14, s6, s13
	s_add_u32 s10, s10, s15
	s_addc_u32 s14, 0, s14
	s_add_u32 s10, s10, s12
	s_mul_hi_u32 s15, s7, s13
	s_addc_u32 s10, s14, s11
	s_addc_u32 s11, s15, 0
	s_mul_i32 s12, s7, s13
	v_mov_b32_e32 v1, s33
	v_add_co_u32_e32 v11, vcc, s36, v5
	s_add_u32 s10, s10, s12
	v_addc_co_u32_e32 v10, vcc, 0, v1, vcc
	v_mov_b32_e32 v1, s10
	s_addc_u32 s11, 0, s11
	v_add_co_u32_e32 v3, vcc, s6, v1
	s_cmp_lg_u64 vcc, 0
	s_addc_u32 s10, s7, s11
	v_mad_u64_u32 v[1:2], s[6:7], v11, s10, 0
	v_mul_hi_u32 v4, v11, v3
	s_waitcnt lgkmcnt(0)
	s_barrier
	v_add_co_u32_e32 v12, vcc, v4, v1
	v_addc_co_u32_e32 v13, vcc, 0, v2, vcc
	v_mad_u64_u32 v[1:2], s[6:7], v10, v3, 0
	v_mad_u64_u32 v[3:4], s[6:7], v10, s10, 0
	v_add_co_u32_e32 v1, vcc, v12, v1
	v_addc_co_u32_e32 v1, vcc, v13, v2, vcc
	v_addc_co_u32_e32 v2, vcc, 0, v4, vcc
	v_add_co_u32_e32 v1, vcc, v1, v3
	v_addc_co_u32_e32 v3, vcc, 0, v2, vcc
	v_mad_u64_u32 v[1:2], s[6:7], v1, 9, 0
	s_mov_b32 s10, 0xffff
	v_mad_u64_u32 v[2:3], s[6:7], v3, 9, v[2:3]
	v_sub_co_u32_e32 v1, vcc, v11, v1
	v_subb_co_u32_e32 v2, vcc, v10, v2, vcc
	v_subrev_co_u32_e32 v3, vcc, 9, v1
	v_subbrev_co_u32_e32 v4, vcc, 0, v2, vcc
	v_cmp_lt_u32_e32 vcc, 8, v3
	v_cndmask_b32_e64 v10, 0, -1, vcc
	v_cmp_eq_u32_e32 vcc, 0, v4
	v_cndmask_b32_e32 v4, -1, v10, vcc
	v_add_u32_e32 v10, -9, v3
	v_cmp_ne_u32_e32 vcc, 0, v4
	v_cndmask_b32_e32 v3, v3, v10, vcc
	v_cmp_lt_u32_e32 vcc, 8, v1
	v_cndmask_b32_e64 v4, 0, -1, vcc
	v_cmp_eq_u32_e32 vcc, 0, v2
	v_cndmask_b32_e32 v2, -1, v4, vcc
	v_cmp_ne_u32_e32 vcc, 0, v2
	v_mul_u32_u24_e32 v2, 56, v5
	v_cndmask_b32_e32 v1, v1, v3, vcc
	v_sub_u32_e32 v12, v0, v2
	v_mul_u32_u24_e32 v1, 0xe0, v1
	v_lshlrev_b32_e32 v0, 2, v12
	v_lshlrev_b32_e32 v19, 2, v1
	v_add_u32_e32 v3, 0, v0
	v_add_u32_e32 v10, v3, v19
	v_add3_u32 v13, 0, v19, v0
	ds_read2_b32 v[0:1], v10 offset0:84 offset1:112
	ds_read_b32 v2, v13
	ds_read2_b32 v[4:5], v10 offset0:28 offset1:56
	ds_read2_b32 v[14:15], v10 offset0:140 offset1:168
	ds_read_b32 v16, v10 offset:784
	s_mov_b32 s6, 0xb9a8
	s_waitcnt lgkmcnt(3)
	v_pk_add_f16 v1, v2, v1 neg_lo:[0,1] neg_hi:[0,1]
	v_pk_fma_f16 v2, v2, 2.0, v1 op_sel_hi:[1,0,1] neg_lo:[0,0,1] neg_hi:[0,0,1]
	s_waitcnt lgkmcnt(1)
	v_pk_add_f16 v15, v5, v15 neg_lo:[0,1] neg_hi:[0,1]
	v_pk_fma_f16 v5, v5, 2.0, v15 op_sel_hi:[1,0,1] neg_lo:[0,0,1] neg_hi:[0,0,1]
	v_pk_add_f16 v17, v2, v5 neg_lo:[0,1] neg_hi:[0,1]
	v_pk_add_f16 v14, v4, v14 neg_lo:[0,1] neg_hi:[0,1]
	s_waitcnt lgkmcnt(0)
	v_pk_add_f16 v16, v0, v16 neg_lo:[0,1] neg_hi:[0,1]
	v_pk_fma_f16 v18, v2, 2.0, v17 op_sel_hi:[1,0,1] neg_lo:[0,0,1] neg_hi:[0,0,1]
	v_lshrrev_b32_e32 v2, 16, v1
	v_pk_fma_f16 v4, v4, 2.0, v14 op_sel_hi:[1,0,1] neg_lo:[0,0,1] neg_hi:[0,0,1]
	v_pk_fma_f16 v0, v0, 2.0, v16 op_sel_hi:[1,0,1] neg_lo:[0,0,1] neg_hi:[0,0,1]
	v_add_f16_e32 v23, v2, v15
	v_sub_f16_sdwa v22, v1, v15 dst_sel:DWORD dst_unused:UNUSED_PAD src0_sel:DWORD src1_sel:WORD_1
	v_fma_f16 v5, v2, 2.0, -v23
	v_pk_add_f16 v0, v4, v0 neg_lo:[0,1] neg_hi:[0,1]
	v_sub_f16_sdwa v21, v14, v16 dst_sel:DWORD dst_unused:UNUSED_PAD src0_sel:DWORD src1_sel:WORD_1
	v_lshrrev_b32_e32 v2, 16, v14
	v_fma_f16 v1, v1, 2.0, -v22
	v_pk_fma_f16 v24, v4, 2.0, v0 op_sel_hi:[1,0,1] neg_lo:[0,0,1] neg_hi:[0,0,1]
	v_add_f16_e32 v25, v2, v16
	v_fma_f16 v4, v14, 2.0, -v21
	v_fma_f16 v2, v2, 2.0, -v25
	v_fma_f16 v14, v4, s6, v1
	v_fma_f16 v15, v2, s6, v5
	;; [unrolled: 1-line block ×3, first 2 shown]
	s_movk_i32 s7, 0x39a8
	v_add_f16_e32 v1, v1, v1
	v_fma_f16 v15, v4, s7, v15
	v_pack_b32_f16 v1, v1, v17
	v_bfi_b32 v4, s10, v2, v0
	v_pk_add_f16 v16, v1, v4 neg_lo:[0,1] neg_hi:[0,1]
	v_alignbit_b32 v1, s0, v17, 16
	v_pk_add_f16 v4, v1, v0
	v_pack_b32_f16 v0, v5, v17
	v_bfi_b32 v1, s10, v15, v16
	v_pk_fma_f16 v5, v0, 2.0, v1 op_sel_hi:[1,0,1] neg_lo:[0,0,1] neg_hi:[0,0,1]
	v_fma_f16 v0, v21, s7, v22
	v_fma_f16 v20, v25, s6, v0
	;; [unrolled: 1-line block ×4, first 2 shown]
	v_pk_add_f16 v1, v18, v24 neg_lo:[0,1] neg_hi:[0,1]
	v_lshrrev_b32_e32 v0, 16, v17
	v_pk_fma_f16 v14, v18, 2.0, v1 op_sel_hi:[1,0,1] neg_lo:[0,0,1] neg_hi:[0,0,1]
	v_fma_f16 v17, v0, 2.0, -v4
	v_fma_f16 v0, v22, 2.0, -v20
	;; [unrolled: 1-line block ×3, first 2 shown]
	v_cmp_gt_u32_e32 vcc, 28, v12
	s_barrier
	s_and_saveexec_b64 s[6:7], vcc
	s_cbranch_execz .LBB0_18
; %bb.17:
	v_mul_i32_i24_e32 v22, 28, v12
	s_mov_b32 s10, 0x5040100
	v_add3_u32 v3, v3, v22, v19
	v_perm_b32 v22, v5, v16, s10
	v_alignbit_b32 v23, v17, v5, 16
	ds_write2_b32 v3, v22, v23 offset0:1 offset1:2
	v_perm_b32 v22, v18, v0, s10
	ds_write2_b32 v3, v22, v1 offset0:3 offset1:4
	v_perm_b32 v22, v15, v2, s10
	v_alignbit_b32 v23, v4, v16, 16
	v_perm_b32 v20, v21, v20, s10
	ds_write2_b32 v3, v22, v23 offset0:5 offset1:6
	ds_write2_b32 v3, v14, v20 offset1:7
.LBB0_18:
	s_or_b64 exec, exec, s[6:7]
	s_mov_b32 s10, 0x5040100
	v_cmp_gt_u32_e32 vcc, 32, v12
	v_perm_b32 v4, v4, v5, s10
	v_lshrrev_b32_e32 v5, 16, v5
	s_waitcnt lgkmcnt(0)
	s_barrier
	s_and_saveexec_b64 s[6:7], vcc
	s_cbranch_execz .LBB0_20
; %bb.19:
	ds_read2_b32 v[4:5], v10 offset0:32 offset1:64
	ds_read2_b32 v[0:1], v10 offset0:96 offset1:128
	;; [unrolled: 1-line block ×3, first 2 shown]
	ds_read_b32 v14, v13
	s_waitcnt lgkmcnt(3)
	v_lshrrev_b32_e32 v17, 16, v5
	s_waitcnt lgkmcnt(2)
	v_lshrrev_b32_e32 v18, 16, v0
	s_waitcnt lgkmcnt(1)
	v_perm_b32 v16, v3, v4, s10
	s_mov_b32 s10, 0x7060302
	v_lshrrev_b32_e32 v15, 16, v2
	v_perm_b32 v4, v3, v4, s10
.LBB0_20:
	s_or_b64 exec, exec, s[6:7]
	s_waitcnt lgkmcnt(0)
	s_barrier
	s_and_saveexec_b64 s[6:7], vcc
	s_cbranch_execz .LBB0_22
; %bb.21:
	v_and_b32_e32 v3, 7, v12
	v_mul_u32_u24_e32 v20, 6, v3
	v_lshlrev_b32_e32 v26, 2, v20
	global_load_dwordx4 v[20:23], v26, s[8:9]
	global_load_dwordx2 v[24:25], v26, s[8:9] offset:16
	v_lshrrev_b32_e32 v28, 3, v12
	v_mul_lo_u32 v28, v28, 56
	s_mov_b32 s20, 0x7060302
	s_mov_b32 s21, 0x5040100
	v_lshrrev_b32_e32 v26, 16, v16
	v_or_b32_e32 v3, v28, v3
	v_lshlrev_b32_e32 v3, 2, v3
	v_add3_u32 v3, 0, v3, v19
	v_alignbit_b32 v27, s0, v1, 16
	s_movk_i32 s13, 0x3574
	s_movk_i32 s11, 0x3b00
	s_mov_b32 s12, 0xb574
	s_movk_i32 s10, 0x370e
	s_movk_i32 s14, 0x2b26
	s_mov_b32 s15, 0xbcab
	s_waitcnt vmcnt(1)
	v_mul_f16_sdwa v19, v4, v20 dst_sel:DWORD dst_unused:UNUSED_PAD src0_sel:DWORD src1_sel:WORD_1
	v_pk_mul_f16 v31, v1, v23
	s_waitcnt vmcnt(0)
	v_perm_b32 v32, v25, v20, s20
	v_mul_f16_sdwa v28, v15, v24 dst_sel:DWORD dst_unused:UNUSED_PAD src0_sel:DWORD src1_sel:WORD_1
	v_mul_f16_sdwa v29, v2, v24 dst_sel:DWORD dst_unused:UNUSED_PAD src0_sel:DWORD src1_sel:WORD_1
	v_mul_f16_sdwa v30, v4, v25 dst_sel:DWORD dst_unused:UNUSED_PAD src0_sel:WORD_1 src1_sel:WORD_1
	v_perm_b32 v33, v25, v20, s21
	v_mul_f16_sdwa v34, v17, v21 dst_sel:DWORD dst_unused:UNUSED_PAD src0_sel:DWORD src1_sel:WORD_1
	v_mul_f16_sdwa v35, v5, v21 dst_sel:DWORD dst_unused:UNUSED_PAD src0_sel:DWORD src1_sel:WORD_1
	;; [unrolled: 1-line block ×3, first 2 shown]
	v_alignbit_b32 v37, s0, v23, 16
	v_fma_f16 v19, v16, v20, -v19
	v_pk_mul_f16 v16, v16, v32
	v_alignbit_b32 v20, s0, v31, 16
	v_fma_f16 v2, v2, v24, -v28
	v_mul_f16_sdwa v28, v0, v22 dst_sel:DWORD dst_unused:UNUSED_PAD src0_sel:DWORD src1_sel:WORD_1
	v_mul_f16_e32 v18, v18, v22
	v_pk_mul_f16 v27, v27, v23
	v_fma_f16 v25, v26, v25, -v30
	v_fma_f16 v15, v15, v24, v29
	v_fma_f16 v5, v5, v21, -v34
	v_fma_f16 v17, v17, v21, v35
	v_fma_f16 v0, v0, v22, -v36
	v_pk_mul_f16 v21, v1, v37
	v_pk_fma_f16 v1, v1, v23, v20 neg_lo:[0,0,1] neg_hi:[0,0,1]
	v_pk_fma_f16 v4, v4, v33, v16
	v_sub_f16_e32 v20, v19, v25
	v_sub_f16_e32 v22, v5, v2
	v_add_f16_e32 v16, v17, v15
	v_sub_f16_e32 v15, v17, v15
	v_pack_b32_f16 v17, v19, v27
	v_pack_b32_f16 v19, v25, v21
	;; [unrolled: 1-line block ×4, first 2 shown]
	v_sub_f16_e32 v18, v1, v0
	v_alignbit_b32 v21, s0, v4, 16
	v_sub_f16_sdwa v23, v4, v4 dst_sel:DWORD dst_unused:UNUSED_PAD src0_sel:DWORD src1_sel:WORD_1
	v_sub_f16_e32 v24, v22, v20
	v_pk_add_f16 v17, v17, v19
	v_pk_add_f16 v2, v5, v2
	v_sub_f16_e32 v19, v18, v22
	v_pk_add_f16 v4, v4, v21
	v_pack_b32_f16 v0, v0, v16
	v_sub_f16_e32 v5, v20, v18
	v_add_f16_e32 v18, v18, v22
	v_mul_f16_e32 v21, 0x3b00, v24
	v_pk_add_f16 v25, v2, v17
	v_mul_f16_e32 v19, 0xb846, v19
	v_pack_b32_f16 v1, v1, v4
	v_add_f16_e32 v18, v18, v20
	v_fma_f16 v20, v5, s12, -v21
	v_sub_f16_e32 v21, v16, v4
	v_sub_f16_sdwa v27, v4, v25 dst_sel:DWORD dst_unused:UNUSED_PAD src0_sel:DWORD src1_sel:WORD_1
	v_fma_f16 v4, v5, s13, v19
	v_fma_f16 v19, v24, s11, -v19
	v_pk_add_f16 v0, v0, v1
	v_fma_f16 v5, v18, s10, v20
	v_fma_f16 v1, v18, s10, v4
	;; [unrolled: 1-line block ×3, first 2 shown]
	v_pk_add_f16 v18, v25, v0
	v_sub_f16_sdwa v29, v17, v2 dst_sel:DWORD dst_unused:UNUSED_PAD src0_sel:WORD_1 src1_sel:WORD_1
	v_sub_f16_e32 v22, v15, v23
	v_sub_f16_e32 v19, v17, v0
	v_pk_add_f16 v14, v14, v18
	v_sub_f16_e32 v30, v29, v15
	v_mul_f16_e32 v26, 0x3b00, v22
	v_sub_f16_sdwa v16, v25, v16 dst_sel:DWORD dst_unused:UNUSED_PAD src0_sel:WORD_1 src1_sel:DWORD
	v_mul_f16_e32 v20, 0x3a52, v27
	v_sub_f16_e32 v0, v0, v2
	v_lshrrev_b32_e32 v25, 16, v18
	v_mul_f16_e32 v19, 0x3a52, v19
	v_lshrrev_b32_e32 v28, 16, v14
	v_add_f16_e32 v15, v29, v15
	v_sub_f16_e32 v29, v23, v29
	v_mul_f16_e32 v30, 0xb846, v30
	v_mul_f16_e32 v24, 0x2b26, v16
	v_fma_f16 v16, v16, s14, v20
	v_mul_f16_e32 v27, 0x2b26, v0
	v_fma_f16 v25, v25, s15, v28
	v_fma_f16 v0, v0, s14, v19
	;; [unrolled: 1-line block ×3, first 2 shown]
	v_add_f16_e32 v15, v15, v23
	v_fma_f16 v23, v29, s13, v30
	v_sub_f16_e32 v2, v2, v17
	s_mov_b32 s13, 0xb9e0
	v_fma_f16 v26, v29, s12, -v26
	s_movk_i32 s12, 0x39e0
	v_add_f16_e32 v16, v16, v25
	v_add_f16_e32 v0, v0, v18
	v_fma_f16 v23, v15, s10, v23
	v_fma_f16 v20, v21, s13, -v20
	v_fma_f16 v19, v2, s13, -v19
	;; [unrolled: 1-line block ×5, first 2 shown]
	v_add_f16_e32 v28, v1, v16
	v_sub_f16_e32 v17, v0, v23
	v_add_f16_e32 v20, v20, v25
	v_add_f16_e32 v19, v19, v18
	v_fma_f16 v26, v15, s10, v26
	v_add_f16_e32 v21, v21, v25
	v_fma_f16 v15, v15, s10, v22
	v_add_f16_e32 v2, v2, v18
	v_sub_f16_e32 v1, v16, v1
	v_add_f16_e32 v0, v23, v0
	v_add_f16_e32 v29, v5, v20
	v_sub_f16_e32 v25, v21, v4
	v_add_f16_e32 v18, v15, v2
	v_add_f16_e32 v4, v4, v21
	v_sub_f16_e32 v2, v2, v15
	v_sub_f16_e32 v5, v20, v5
	v_add_f16_e32 v15, v26, v19
	v_pack_b32_f16 v0, v0, v1
	v_sub_f16_e32 v24, v19, v26
	ds_write2_b32 v3, v14, v0 offset1:8
	v_pack_b32_f16 v0, v15, v5
	v_pack_b32_f16 v1, v2, v4
	ds_write2_b32 v3, v0, v1 offset0:16 offset1:24
	v_pack_b32_f16 v0, v18, v25
	v_pack_b32_f16 v1, v24, v29
	ds_write2_b32 v3, v0, v1 offset0:32 offset1:40
	v_pack_b32_f16 v0, v17, v28
	ds_write_b32 v3, v0 offset:192
.LBB0_22:
	s_or_b64 exec, exec, s[6:7]
	v_mul_i32_i24_e32 v0, 3, v12
	v_mov_b32_e32 v1, 0
	v_lshlrev_b64 v[0:1], 2, v[0:1]
	v_mov_b32_e32 v2, s9
	v_add_co_u32_e32 v0, vcc, s8, v0
	v_addc_co_u32_e32 v1, vcc, v2, v1, vcc
	s_waitcnt lgkmcnt(0)
	s_barrier
	global_load_dwordx3 v[0:2], v[0:1], off offset:192
	v_mul_lo_u32 v5, v12, v11
	v_mul_lo_u32 v11, v11, 56
	ds_read2_b32 v[3:4], v10 offset0:56 offset1:112
	ds_read_b32 v12, v13
	ds_read_b32 v13, v10 offset:672
	v_and_b32_e32 v14, 31, v5
	v_lshrrev_b32_e32 v15, 3, v5
	v_lshrrev_b32_e32 v16, 8, v5
	v_add_u32_e32 v5, v5, v11
	v_and_b32_e32 v21, 31, v5
	v_lshrrev_b32_e32 v22, 3, v5
	v_lshrrev_b32_e32 v23, 8, v5
	v_add_u32_e32 v5, v5, v11
	v_lshrrev_b32_e32 v25, 3, v5
	s_add_i32 s6, 0, 0x1f80
	v_and_b32_e32 v15, 0x7c, v15
	v_and_b32_e32 v16, 0x7c, v16
	;; [unrolled: 1-line block ×6, first 2 shown]
	v_lshl_add_u32 v14, v14, 2, 0
	v_add_u32_e32 v15, s6, v15
	v_add_u32_e32 v16, s6, v16
	v_lshl_add_u32 v21, v21, 2, 0
	v_add_u32_e32 v22, s6, v22
	v_add_u32_e32 v23, s6, v23
	v_lshl_add_u32 v24, v24, 2, 0
	v_add_u32_e32 v25, s6, v25
	ds_read_b32 v14, v14 offset:8064
	ds_read_b32 v15, v15 offset:128
	;; [unrolled: 1-line block ×8, first 2 shown]
	s_waitcnt lgkmcnt(7)
	v_lshrrev_b32_e32 v26, 16, v14
	s_waitcnt lgkmcnt(6)
	v_mul_f16_sdwa v27, v26, v15 dst_sel:DWORD dst_unused:UNUSED_PAD src0_sel:DWORD src1_sel:WORD_1
	v_mul_f16_sdwa v28, v14, v15 dst_sel:DWORD dst_unused:UNUSED_PAD src0_sel:DWORD src1_sel:WORD_1
	v_fma_f16 v14, v14, v15, -v27
	v_fma_f16 v15, v26, v15, v28
	v_lshrrev_b32_e32 v17, 16, v3
	v_lshrrev_b32_e32 v18, 16, v4
	;; [unrolled: 1-line block ×3, first 2 shown]
	s_waitcnt lgkmcnt(5)
	v_mul_f16_sdwa v26, v15, v16 dst_sel:DWORD dst_unused:UNUSED_PAD src0_sel:DWORD src1_sel:WORD_1
	v_mul_f16_sdwa v27, v14, v16 dst_sel:DWORD dst_unused:UNUSED_PAD src0_sel:DWORD src1_sel:WORD_1
	v_fma_f16 v14, v16, v14, -v26
	v_fma_f16 v15, v16, v15, v27
	v_lshrrev_b32_e32 v20, 16, v12
	s_waitcnt vmcnt(0)
	v_mul_f16_sdwa v16, v0, v17 dst_sel:DWORD dst_unused:UNUSED_PAD src0_sel:WORD_1 src1_sel:DWORD
	v_mul_f16_sdwa v26, v0, v3 dst_sel:DWORD dst_unused:UNUSED_PAD src0_sel:WORD_1 src1_sel:DWORD
	v_mul_f16_sdwa v27, v1, v18 dst_sel:DWORD dst_unused:UNUSED_PAD src0_sel:WORD_1 src1_sel:DWORD
	v_mul_f16_sdwa v28, v1, v4 dst_sel:DWORD dst_unused:UNUSED_PAD src0_sel:WORD_1 src1_sel:DWORD
	v_mul_f16_sdwa v29, v2, v19 dst_sel:DWORD dst_unused:UNUSED_PAD src0_sel:WORD_1 src1_sel:DWORD
	v_mul_f16_sdwa v30, v2, v13 dst_sel:DWORD dst_unused:UNUSED_PAD src0_sel:WORD_1 src1_sel:DWORD
	v_fma_f16 v3, v0, v3, -v16
	v_fma_f16 v0, v0, v17, v26
	v_fma_f16 v4, v1, v4, -v27
	v_fma_f16 v1, v1, v18, v28
	;; [unrolled: 2-line block ×3, first 2 shown]
	v_sub_f16_e32 v1, v20, v1
	v_sub_f16_e32 v2, v0, v2
	;; [unrolled: 1-line block ×4, first 2 shown]
	v_fma_f16 v16, v20, 2.0, -v1
	v_fma_f16 v0, v0, 2.0, -v2
	;; [unrolled: 1-line block ×4, first 2 shown]
	v_sub_f16_e32 v0, v16, v0
	v_sub_f16_e32 v3, v12, v3
	v_fma_f16 v16, v16, 2.0, -v0
	v_fma_f16 v12, v12, 2.0, -v3
	v_mul_f16_e32 v17, v16, v15
	v_fma_f16 v17, v12, v14, -v17
	v_mul_f16_e32 v12, v12, v15
	v_fma_f16 v12, v16, v14, v12
	s_waitcnt lgkmcnt(4)
	v_lshrrev_b32_e32 v14, 16, v21
	s_waitcnt lgkmcnt(3)
	v_mul_f16_sdwa v16, v21, v22 dst_sel:DWORD dst_unused:UNUSED_PAD src0_sel:DWORD src1_sel:WORD_1
	v_mul_f16_sdwa v15, v14, v22 dst_sel:DWORD dst_unused:UNUSED_PAD src0_sel:DWORD src1_sel:WORD_1
	v_fma_f16 v14, v14, v22, v16
	v_fma_f16 v15, v21, v22, -v15
	s_waitcnt lgkmcnt(2)
	v_mul_f16_sdwa v16, v14, v23 dst_sel:DWORD dst_unused:UNUSED_PAD src0_sel:DWORD src1_sel:WORD_1
	v_add_f16_e32 v13, v1, v13
	v_fma_f16 v16, v23, v15, -v16
	v_mul_f16_sdwa v15, v15, v23 dst_sel:DWORD dst_unused:UNUSED_PAD src0_sel:DWORD src1_sel:WORD_1
	v_sub_f16_e32 v2, v4, v2
	v_fma_f16 v1, v1, 2.0, -v13
	v_fma_f16 v14, v23, v14, v15
	v_fma_f16 v4, v4, 2.0, -v2
	v_mul_f16_e32 v15, v1, v14
	v_fma_f16 v15, v4, v16, -v15
	v_mul_f16_e32 v4, v4, v14
	v_fma_f16 v1, v1, v16, v4
	s_waitcnt lgkmcnt(1)
	v_lshrrev_b32_e32 v4, 16, v24
	s_waitcnt lgkmcnt(0)
	v_mul_f16_sdwa v16, v24, v25 dst_sel:DWORD dst_unused:UNUSED_PAD src0_sel:DWORD src1_sel:WORD_1
	v_mul_f16_sdwa v14, v4, v25 dst_sel:DWORD dst_unused:UNUSED_PAD src0_sel:DWORD src1_sel:WORD_1
	v_fma_f16 v4, v4, v25, v16
	v_lshrrev_b32_e32 v16, 8, v5
	v_and_b32_e32 v16, 0x7c, v16
	v_add_u32_e32 v16, s6, v16
	ds_read_b32 v16, v16 offset:256
	v_add_u32_e32 v5, v5, v11
	v_and_b32_e32 v11, 31, v5
	v_lshrrev_b32_e32 v18, 3, v5
	v_lshrrev_b32_e32 v5, 8, v5
	v_fma_f16 v14, v24, v25, -v14
	v_and_b32_e32 v18, 0x7c, v18
	v_and_b32_e32 v5, 0x7c, v5
	s_waitcnt lgkmcnt(0)
	v_mul_f16_sdwa v19, v4, v16 dst_sel:DWORD dst_unused:UNUSED_PAD src0_sel:DWORD src1_sel:WORD_1
	v_lshl_add_u32 v11, v11, 2, 0
	v_add_u32_e32 v18, s6, v18
	v_add_u32_e32 v5, s6, v5
	v_fma_f16 v19, v16, v14, -v19
	v_mul_f16_sdwa v14, v14, v16 dst_sel:DWORD dst_unused:UNUSED_PAD src0_sel:DWORD src1_sel:WORD_1
	ds_read_b32 v11, v11 offset:8064
	ds_read_b32 v18, v18 offset:128
	;; [unrolled: 1-line block ×3, first 2 shown]
	v_fma_f16 v4, v16, v4, v14
	v_mul_f16_e32 v14, v0, v4
	v_fma_f16 v14, v3, v19, -v14
	v_mul_f16_e32 v3, v3, v4
	v_fma_f16 v0, v0, v19, v3
	s_waitcnt lgkmcnt(2)
	v_lshrrev_b32_e32 v3, 16, v11
	s_waitcnt lgkmcnt(1)
	v_mul_f16_sdwa v4, v3, v18 dst_sel:DWORD dst_unused:UNUSED_PAD src0_sel:DWORD src1_sel:WORD_1
	v_fma_f16 v4, v11, v18, -v4
	v_mul_f16_sdwa v11, v11, v18 dst_sel:DWORD dst_unused:UNUSED_PAD src0_sel:DWORD src1_sel:WORD_1
	v_fma_f16 v3, v3, v18, v11
	s_waitcnt lgkmcnt(0)
	v_mul_f16_sdwa v11, v3, v5 dst_sel:DWORD dst_unused:UNUSED_PAD src0_sel:DWORD src1_sel:WORD_1
	v_fma_f16 v11, v5, v4, -v11
	v_mul_f16_sdwa v4, v4, v5 dst_sel:DWORD dst_unused:UNUSED_PAD src0_sel:DWORD src1_sel:WORD_1
	v_fma_f16 v3, v5, v3, v4
	v_mul_f16_e32 v4, v13, v3
	v_fma_f16 v4, v2, v11, -v4
	v_mul_f16_e32 v2, v2, v3
	v_fma_f16 v2, v13, v11, v2
	v_pack_b32_f16 v3, v17, v12
	v_pack_b32_f16 v1, v15, v1
	s_barrier
	ds_write2_b32 v10, v3, v1 offset1:56
	v_pack_b32_f16 v0, v14, v0
	v_pack_b32_f16 v1, v4, v2
	ds_write2_b32 v10, v0, v1 offset0:112 offset1:168
	s_waitcnt lgkmcnt(0)
	s_barrier
	s_and_saveexec_b64 s[6:7], s[0:1]
	s_cbranch_execz .LBB0_24
; %bb.23:
	v_mad_u64_u32 v[0:1], s[0:1], s18, v8, 0
	v_mad_u64_u32 v[2:3], s[0:1], s16, v6, 0
	;; [unrolled: 1-line block ×3, first 2 shown]
	v_mov_b32_e32 v1, v3
	v_mad_u64_u32 v[10:11], s[0:1], s17, v6, v[1:2]
	s_movk_i32 s0, 0x380
	v_mul_lo_u32 v5, v8, s0
	s_lshl_b64 s[0:1], s[4:5], 2
	s_add_u32 s2, s2, s0
	s_addc_u32 s0, s3, s1
	v_mov_b32_e32 v1, v4
	v_mov_b32_e32 v3, v10
	v_add3_u32 v10, 0, v5, v9
	v_mov_b32_e32 v11, s0
	v_mad_u64_u32 v[8:9], s[0:1], s16, v7, 0
	v_lshlrev_b64 v[0:1], 2, v[0:1]
	ds_read2_b32 v[4:5], v10 offset1:56
	v_add_co_u32_e32 v12, vcc, s2, v0
	v_addc_co_u32_e32 v11, vcc, v11, v1, vcc
	v_lshlrev_b64 v[0:1], 2, v[2:3]
	v_mov_b32_e32 v2, v9
	v_mad_u64_u32 v[2:3], s[0:1], s17, v7, v[2:3]
	v_add_co_u32_e32 v0, vcc, v12, v0
	v_addc_co_u32_e32 v1, vcc, v11, v1, vcc
	s_waitcnt lgkmcnt(0)
	global_store_dword v[0:1], v4, off
	v_mov_b32_e32 v9, v2
	v_add_u32_e32 v4, 0x70, v6
	v_lshlrev_b64 v[0:1], 2, v[8:9]
	v_mad_u64_u32 v[2:3], s[0:1], s16, v4, 0
	v_add_co_u32_e32 v0, vcc, v12, v0
	v_addc_co_u32_e32 v1, vcc, v11, v1, vcc
	global_store_dword v[0:1], v5, off
	v_mov_b32_e32 v0, v3
	v_mad_u64_u32 v[0:1], s[0:1], s17, v4, v[0:1]
	v_add_u32_e32 v6, 0xa8, v6
	v_mad_u64_u32 v[4:5], s[0:1], s16, v6, 0
	v_mov_b32_e32 v3, v0
	ds_read2_b32 v[0:1], v10 offset0:112 offset1:168
	v_lshlrev_b64 v[2:3], 2, v[2:3]
	v_mad_u64_u32 v[5:6], s[0:1], s17, v6, v[5:6]
	v_add_co_u32_e32 v2, vcc, v12, v2
	v_addc_co_u32_e32 v3, vcc, v11, v3, vcc
	s_waitcnt lgkmcnt(0)
	global_store_dword v[2:3], v0, off
	v_lshlrev_b64 v[2:3], 2, v[4:5]
	v_add_co_u32_e32 v2, vcc, v12, v2
	v_addc_co_u32_e32 v3, vcc, v11, v3, vcc
	global_store_dword v[2:3], v1, off
.LBB0_24:
	s_endpgm
	.section	.rodata,"a",@progbits
	.p2align	6, 0x0
	.amdhsa_kernel fft_rtc_fwd_len224_factors_8_7_4_wgs_504_tpt_56_half_ip_CI_sbcc_twdbase5_3step
		.amdhsa_group_segment_fixed_size 0
		.amdhsa_private_segment_fixed_size 0
		.amdhsa_kernarg_size 96
		.amdhsa_user_sgpr_count 6
		.amdhsa_user_sgpr_private_segment_buffer 1
		.amdhsa_user_sgpr_dispatch_ptr 0
		.amdhsa_user_sgpr_queue_ptr 0
		.amdhsa_user_sgpr_kernarg_segment_ptr 1
		.amdhsa_user_sgpr_dispatch_id 0
		.amdhsa_user_sgpr_flat_scratch_init 0
		.amdhsa_user_sgpr_private_segment_size 0
		.amdhsa_uses_dynamic_stack 0
		.amdhsa_system_sgpr_private_segment_wavefront_offset 0
		.amdhsa_system_sgpr_workgroup_id_x 1
		.amdhsa_system_sgpr_workgroup_id_y 0
		.amdhsa_system_sgpr_workgroup_id_z 0
		.amdhsa_system_sgpr_workgroup_info 0
		.amdhsa_system_vgpr_workitem_id 0
		.amdhsa_next_free_vgpr 38
		.amdhsa_next_free_sgpr 43
		.amdhsa_reserve_vcc 1
		.amdhsa_reserve_flat_scratch 0
		.amdhsa_float_round_mode_32 0
		.amdhsa_float_round_mode_16_64 0
		.amdhsa_float_denorm_mode_32 3
		.amdhsa_float_denorm_mode_16_64 3
		.amdhsa_dx10_clamp 1
		.amdhsa_ieee_mode 1
		.amdhsa_fp16_overflow 0
		.amdhsa_exception_fp_ieee_invalid_op 0
		.amdhsa_exception_fp_denorm_src 0
		.amdhsa_exception_fp_ieee_div_zero 0
		.amdhsa_exception_fp_ieee_overflow 0
		.amdhsa_exception_fp_ieee_underflow 0
		.amdhsa_exception_fp_ieee_inexact 0
		.amdhsa_exception_int_div_zero 0
	.end_amdhsa_kernel
	.text
.Lfunc_end0:
	.size	fft_rtc_fwd_len224_factors_8_7_4_wgs_504_tpt_56_half_ip_CI_sbcc_twdbase5_3step, .Lfunc_end0-fft_rtc_fwd_len224_factors_8_7_4_wgs_504_tpt_56_half_ip_CI_sbcc_twdbase5_3step
                                        ; -- End function
	.section	.AMDGPU.csdata,"",@progbits
; Kernel info:
; codeLenInByte = 5268
; NumSgprs: 47
; NumVgprs: 38
; ScratchSize: 0
; MemoryBound: 0
; FloatMode: 240
; IeeeMode: 1
; LDSByteSize: 0 bytes/workgroup (compile time only)
; SGPRBlocks: 5
; VGPRBlocks: 9
; NumSGPRsForWavesPerEU: 47
; NumVGPRsForWavesPerEU: 38
; Occupancy: 6
; WaveLimiterHint : 1
; COMPUTE_PGM_RSRC2:SCRATCH_EN: 0
; COMPUTE_PGM_RSRC2:USER_SGPR: 6
; COMPUTE_PGM_RSRC2:TRAP_HANDLER: 0
; COMPUTE_PGM_RSRC2:TGID_X_EN: 1
; COMPUTE_PGM_RSRC2:TGID_Y_EN: 0
; COMPUTE_PGM_RSRC2:TGID_Z_EN: 0
; COMPUTE_PGM_RSRC2:TIDIG_COMP_CNT: 0
	.type	__hip_cuid_8b75c363204d66ea,@object ; @__hip_cuid_8b75c363204d66ea
	.section	.bss,"aw",@nobits
	.globl	__hip_cuid_8b75c363204d66ea
__hip_cuid_8b75c363204d66ea:
	.byte	0                               ; 0x0
	.size	__hip_cuid_8b75c363204d66ea, 1

	.ident	"AMD clang version 19.0.0git (https://github.com/RadeonOpenCompute/llvm-project roc-6.4.0 25133 c7fe45cf4b819c5991fe208aaa96edf142730f1d)"
	.section	".note.GNU-stack","",@progbits
	.addrsig
	.addrsig_sym __hip_cuid_8b75c363204d66ea
	.amdgpu_metadata
---
amdhsa.kernels:
  - .args:
      - .actual_access:  read_only
        .address_space:  global
        .offset:         0
        .size:           8
        .value_kind:     global_buffer
      - .address_space:  global
        .offset:         8
        .size:           8
        .value_kind:     global_buffer
      - .offset:         16
        .size:           8
        .value_kind:     by_value
      - .actual_access:  read_only
        .address_space:  global
        .offset:         24
        .size:           8
        .value_kind:     global_buffer
      - .actual_access:  read_only
        .address_space:  global
        .offset:         32
        .size:           8
        .value_kind:     global_buffer
      - .offset:         40
        .size:           8
        .value_kind:     by_value
      - .actual_access:  read_only
        .address_space:  global
        .offset:         48
        .size:           8
        .value_kind:     global_buffer
      - .actual_access:  read_only
        .address_space:  global
        .offset:         56
        .size:           8
        .value_kind:     global_buffer
      - .offset:         64
        .size:           4
        .value_kind:     by_value
      - .actual_access:  read_only
        .address_space:  global
        .offset:         72
        .size:           8
        .value_kind:     global_buffer
      - .actual_access:  read_only
        .address_space:  global
        .offset:         80
        .size:           8
        .value_kind:     global_buffer
      - .address_space:  global
        .offset:         88
        .size:           8
        .value_kind:     global_buffer
    .group_segment_fixed_size: 0
    .kernarg_segment_align: 8
    .kernarg_segment_size: 96
    .language:       OpenCL C
    .language_version:
      - 2
      - 0
    .max_flat_workgroup_size: 504
    .name:           fft_rtc_fwd_len224_factors_8_7_4_wgs_504_tpt_56_half_ip_CI_sbcc_twdbase5_3step
    .private_segment_fixed_size: 0
    .sgpr_count:     47
    .sgpr_spill_count: 0
    .symbol:         fft_rtc_fwd_len224_factors_8_7_4_wgs_504_tpt_56_half_ip_CI_sbcc_twdbase5_3step.kd
    .uniform_work_group_size: 1
    .uses_dynamic_stack: false
    .vgpr_count:     38
    .vgpr_spill_count: 0
    .wavefront_size: 64
amdhsa.target:   amdgcn-amd-amdhsa--gfx906
amdhsa.version:
  - 1
  - 2
...

	.end_amdgpu_metadata
